;; amdgpu-corpus repo=ROCm/rocFFT kind=compiled arch=gfx906 opt=O3
	.text
	.amdgcn_target "amdgcn-amd-amdhsa--gfx906"
	.amdhsa_code_object_version 6
	.protected	fft_rtc_back_len175_factors_5_5_7_wgs_245_tpt_35_sp_ip_CI_unitstride_sbrr_dirReg ; -- Begin function fft_rtc_back_len175_factors_5_5_7_wgs_245_tpt_35_sp_ip_CI_unitstride_sbrr_dirReg
	.globl	fft_rtc_back_len175_factors_5_5_7_wgs_245_tpt_35_sp_ip_CI_unitstride_sbrr_dirReg
	.p2align	8
	.type	fft_rtc_back_len175_factors_5_5_7_wgs_245_tpt_35_sp_ip_CI_unitstride_sbrr_dirReg,@function
fft_rtc_back_len175_factors_5_5_7_wgs_245_tpt_35_sp_ip_CI_unitstride_sbrr_dirReg: ; @fft_rtc_back_len175_factors_5_5_7_wgs_245_tpt_35_sp_ip_CI_unitstride_sbrr_dirReg
; %bb.0:
	s_load_dwordx2 s[2:3], s[4:5], 0x50
	s_load_dwordx4 s[8:11], s[4:5], 0x0
	s_load_dwordx2 s[12:13], s[4:5], 0x18
	v_mul_u32_u24_e32 v1, 0x751, v0
	v_lshrrev_b32_e32 v1, 16, v1
	v_mad_u64_u32 v[1:2], s[0:1], s6, 7, v[1:2]
	v_mov_b32_e32 v5, 0
	s_waitcnt lgkmcnt(0)
	v_cmp_lt_u64_e64 s[0:1], s[10:11], 2
	v_mov_b32_e32 v2, v5
	v_mov_b32_e32 v3, 0
	;; [unrolled: 1-line block ×3, first 2 shown]
	s_and_b64 vcc, exec, s[0:1]
	v_mov_b32_e32 v4, 0
	v_mov_b32_e32 v9, v1
	s_cbranch_vccnz .LBB0_8
; %bb.1:
	s_load_dwordx2 s[0:1], s[4:5], 0x10
	s_add_u32 s6, s12, 8
	s_addc_u32 s7, s13, 0
	v_mov_b32_e32 v3, 0
	v_mov_b32_e32 v8, v2
	s_waitcnt lgkmcnt(0)
	s_add_u32 s16, s0, 8
	s_mov_b64 s[14:15], 1
	v_mov_b32_e32 v4, 0
	s_addc_u32 s17, s1, 0
	v_mov_b32_e32 v7, v1
.LBB0_2:                                ; =>This Inner Loop Header: Depth=1
	s_load_dwordx2 s[18:19], s[16:17], 0x0
                                        ; implicit-def: $vgpr9_vgpr10
	s_waitcnt lgkmcnt(0)
	v_or_b32_e32 v6, s19, v8
	v_cmp_ne_u64_e32 vcc, 0, v[5:6]
	s_and_saveexec_b64 s[0:1], vcc
	s_xor_b64 s[20:21], exec, s[0:1]
	s_cbranch_execz .LBB0_4
; %bb.3:                                ;   in Loop: Header=BB0_2 Depth=1
	v_cvt_f32_u32_e32 v2, s18
	v_cvt_f32_u32_e32 v6, s19
	s_sub_u32 s0, 0, s18
	s_subb_u32 s1, 0, s19
	v_mac_f32_e32 v2, 0x4f800000, v6
	v_rcp_f32_e32 v2, v2
	v_mul_f32_e32 v2, 0x5f7ffffc, v2
	v_mul_f32_e32 v6, 0x2f800000, v2
	v_trunc_f32_e32 v6, v6
	v_mac_f32_e32 v2, 0xcf800000, v6
	v_cvt_u32_f32_e32 v6, v6
	v_cvt_u32_f32_e32 v2, v2
	v_mul_lo_u32 v9, s0, v6
	v_mul_hi_u32 v10, s0, v2
	v_mul_lo_u32 v12, s1, v2
	v_mul_lo_u32 v11, s0, v2
	v_add_u32_e32 v9, v10, v9
	v_add_u32_e32 v9, v9, v12
	v_mul_hi_u32 v10, v2, v11
	v_mul_lo_u32 v12, v2, v9
	v_mul_hi_u32 v14, v2, v9
	v_mul_hi_u32 v13, v6, v11
	v_mul_lo_u32 v11, v6, v11
	v_mul_hi_u32 v15, v6, v9
	v_add_co_u32_e32 v10, vcc, v10, v12
	v_addc_co_u32_e32 v12, vcc, 0, v14, vcc
	v_mul_lo_u32 v9, v6, v9
	v_add_co_u32_e32 v10, vcc, v10, v11
	v_addc_co_u32_e32 v10, vcc, v12, v13, vcc
	v_addc_co_u32_e32 v11, vcc, 0, v15, vcc
	v_add_co_u32_e32 v9, vcc, v10, v9
	v_addc_co_u32_e32 v10, vcc, 0, v11, vcc
	v_add_co_u32_e32 v2, vcc, v2, v9
	v_addc_co_u32_e32 v6, vcc, v6, v10, vcc
	v_mul_lo_u32 v9, s0, v6
	v_mul_hi_u32 v10, s0, v2
	v_mul_lo_u32 v11, s1, v2
	v_mul_lo_u32 v12, s0, v2
	v_add_u32_e32 v9, v10, v9
	v_add_u32_e32 v9, v9, v11
	v_mul_lo_u32 v13, v2, v9
	v_mul_hi_u32 v14, v2, v12
	v_mul_hi_u32 v15, v2, v9
	;; [unrolled: 1-line block ×3, first 2 shown]
	v_mul_lo_u32 v12, v6, v12
	v_mul_hi_u32 v10, v6, v9
	v_add_co_u32_e32 v13, vcc, v14, v13
	v_addc_co_u32_e32 v14, vcc, 0, v15, vcc
	v_mul_lo_u32 v9, v6, v9
	v_add_co_u32_e32 v12, vcc, v13, v12
	v_addc_co_u32_e32 v11, vcc, v14, v11, vcc
	v_addc_co_u32_e32 v10, vcc, 0, v10, vcc
	v_add_co_u32_e32 v9, vcc, v11, v9
	v_addc_co_u32_e32 v10, vcc, 0, v10, vcc
	v_add_co_u32_e32 v2, vcc, v2, v9
	v_addc_co_u32_e32 v6, vcc, v6, v10, vcc
	v_mad_u64_u32 v[9:10], s[0:1], v7, v6, 0
	v_mul_hi_u32 v11, v7, v2
	v_add_co_u32_e32 v13, vcc, v11, v9
	v_addc_co_u32_e32 v14, vcc, 0, v10, vcc
	v_mad_u64_u32 v[9:10], s[0:1], v8, v2, 0
	v_mad_u64_u32 v[11:12], s[0:1], v8, v6, 0
	v_add_co_u32_e32 v2, vcc, v13, v9
	v_addc_co_u32_e32 v2, vcc, v14, v10, vcc
	v_addc_co_u32_e32 v6, vcc, 0, v12, vcc
	v_add_co_u32_e32 v2, vcc, v2, v11
	v_addc_co_u32_e32 v6, vcc, 0, v6, vcc
	v_mul_lo_u32 v11, s19, v2
	v_mul_lo_u32 v12, s18, v6
	v_mad_u64_u32 v[9:10], s[0:1], s18, v2, 0
	v_add3_u32 v10, v10, v12, v11
	v_sub_u32_e32 v11, v8, v10
	v_mov_b32_e32 v12, s19
	v_sub_co_u32_e32 v9, vcc, v7, v9
	v_subb_co_u32_e64 v11, s[0:1], v11, v12, vcc
	v_subrev_co_u32_e64 v12, s[0:1], s18, v9
	v_subbrev_co_u32_e64 v11, s[0:1], 0, v11, s[0:1]
	v_cmp_le_u32_e64 s[0:1], s19, v11
	v_cndmask_b32_e64 v13, 0, -1, s[0:1]
	v_cmp_le_u32_e64 s[0:1], s18, v12
	v_cndmask_b32_e64 v12, 0, -1, s[0:1]
	v_cmp_eq_u32_e64 s[0:1], s19, v11
	v_cndmask_b32_e64 v11, v13, v12, s[0:1]
	v_add_co_u32_e64 v12, s[0:1], 2, v2
	v_addc_co_u32_e64 v13, s[0:1], 0, v6, s[0:1]
	v_add_co_u32_e64 v14, s[0:1], 1, v2
	v_addc_co_u32_e64 v15, s[0:1], 0, v6, s[0:1]
	v_subb_co_u32_e32 v10, vcc, v8, v10, vcc
	v_cmp_ne_u32_e64 s[0:1], 0, v11
	v_cmp_le_u32_e32 vcc, s19, v10
	v_cndmask_b32_e64 v11, v15, v13, s[0:1]
	v_cndmask_b32_e64 v13, 0, -1, vcc
	v_cmp_le_u32_e32 vcc, s18, v9
	v_cndmask_b32_e64 v9, 0, -1, vcc
	v_cmp_eq_u32_e32 vcc, s19, v10
	v_cndmask_b32_e32 v9, v13, v9, vcc
	v_cmp_ne_u32_e32 vcc, 0, v9
	v_cndmask_b32_e32 v10, v6, v11, vcc
	v_cndmask_b32_e64 v6, v14, v12, s[0:1]
	v_cndmask_b32_e32 v9, v2, v6, vcc
.LBB0_4:                                ;   in Loop: Header=BB0_2 Depth=1
	s_andn2_saveexec_b64 s[0:1], s[20:21]
	s_cbranch_execz .LBB0_6
; %bb.5:                                ;   in Loop: Header=BB0_2 Depth=1
	v_cvt_f32_u32_e32 v2, s18
	s_sub_i32 s20, 0, s18
	v_rcp_iflag_f32_e32 v2, v2
	v_mul_f32_e32 v2, 0x4f7ffffe, v2
	v_cvt_u32_f32_e32 v2, v2
	v_mul_lo_u32 v6, s20, v2
	v_mul_hi_u32 v6, v2, v6
	v_add_u32_e32 v2, v2, v6
	v_mul_hi_u32 v2, v7, v2
	v_mul_lo_u32 v6, v2, s18
	v_add_u32_e32 v9, 1, v2
	v_sub_u32_e32 v6, v7, v6
	v_subrev_u32_e32 v10, s18, v6
	v_cmp_le_u32_e32 vcc, s18, v6
	v_cndmask_b32_e32 v6, v6, v10, vcc
	v_cndmask_b32_e32 v2, v2, v9, vcc
	v_add_u32_e32 v9, 1, v2
	v_cmp_le_u32_e32 vcc, s18, v6
	v_cndmask_b32_e32 v9, v2, v9, vcc
	v_mov_b32_e32 v10, v5
.LBB0_6:                                ;   in Loop: Header=BB0_2 Depth=1
	s_or_b64 exec, exec, s[0:1]
	v_mul_lo_u32 v2, v10, s18
	v_mul_lo_u32 v6, v9, s19
	v_mad_u64_u32 v[11:12], s[0:1], v9, s18, 0
	s_load_dwordx2 s[0:1], s[6:7], 0x0
	s_add_u32 s14, s14, 1
	v_add3_u32 v2, v12, v6, v2
	v_sub_co_u32_e32 v6, vcc, v7, v11
	v_subb_co_u32_e32 v2, vcc, v8, v2, vcc
	s_waitcnt lgkmcnt(0)
	v_mul_lo_u32 v2, s0, v2
	v_mul_lo_u32 v7, s1, v6
	v_mad_u64_u32 v[3:4], s[0:1], s0, v6, v[3:4]
	s_addc_u32 s15, s15, 0
	s_add_u32 s6, s6, 8
	v_add3_u32 v4, v7, v4, v2
	v_mov_b32_e32 v6, s10
	v_mov_b32_e32 v7, s11
	s_addc_u32 s7, s7, 0
	v_cmp_ge_u64_e32 vcc, s[14:15], v[6:7]
	s_add_u32 s16, s16, 8
	s_addc_u32 s17, s17, 0
	s_cbranch_vccnz .LBB0_8
; %bb.7:                                ;   in Loop: Header=BB0_2 Depth=1
	v_mov_b32_e32 v7, v9
	v_mov_b32_e32 v8, v10
	s_branch .LBB0_2
.LBB0_8:
	s_lshl_b64 s[0:1], s[10:11], 3
	s_add_u32 s0, s12, s0
	s_addc_u32 s1, s13, s1
	s_load_dwordx2 s[6:7], s[0:1], 0x0
	s_load_dwordx2 s[10:11], s[4:5], 0x20
                                        ; implicit-def: $vgpr7
                                        ; implicit-def: $vgpr11
	s_waitcnt lgkmcnt(0)
	v_mad_u64_u32 v[2:3], s[0:1], s6, v9, v[3:4]
	v_mul_lo_u32 v5, s6, v10
	v_mul_lo_u32 v6, s7, v9
	s_mov_b32 s0, 0x7507508
	v_mul_hi_u32 v4, v0, s0
	v_cmp_gt_u64_e32 vcc, s[10:11], v[9:10]
	v_add3_u32 v3, v6, v3, v5
	v_lshlrev_b64 v[14:15], 3, v[2:3]
	v_mul_u32_u24_e32 v4, 35, v4
	v_sub_u32_e32 v12, v0, v4
                                        ; implicit-def: $vgpr3
                                        ; implicit-def: $vgpr5
                                        ; implicit-def: $vgpr9
	s_and_saveexec_b64 s[4:5], vcc
	s_cbranch_execz .LBB0_10
; %bb.9:
	v_mov_b32_e32 v13, 0
	v_mov_b32_e32 v0, s3
	v_add_co_u32_e64 v4, s[0:1], s2, v14
	v_lshlrev_b64 v[2:3], 3, v[12:13]
	v_addc_co_u32_e64 v0, s[0:1], v0, v15, s[0:1]
	v_add_co_u32_e64 v16, s[0:1], v4, v2
	v_addc_co_u32_e64 v17, s[0:1], v0, v3, s[0:1]
	global_load_dwordx2 v[2:3], v[16:17], off
	global_load_dwordx2 v[4:5], v[16:17], off offset:280
	global_load_dwordx2 v[6:7], v[16:17], off offset:560
	;; [unrolled: 1-line block ×4, first 2 shown]
.LBB0_10:
	s_or_b64 exec, exec, s[4:5]
	s_mov_b32 s0, 0x24924925
	v_mul_hi_u32 v0, v1, s0
	s_waitcnt vmcnt(2)
	v_sub_f32_e32 v13, v4, v6
	s_waitcnt vmcnt(0)
	v_sub_f32_e32 v16, v10, v8
	v_add_f32_e32 v17, v2, v4
	v_sub_u32_e32 v18, v1, v0
	v_lshrrev_b32_e32 v18, 1, v18
	v_add_u32_e32 v0, v18, v0
	v_lshrrev_b32_e32 v0, 2, v0
	v_mul_lo_u32 v0, v0, 7
	v_add_f32_e32 v13, v13, v16
	v_add_f32_e32 v16, v17, v6
	;; [unrolled: 1-line block ×3, first 2 shown]
	v_sub_u32_e32 v20, v1, v0
	v_add_f32_e32 v0, v3, v5
	v_add_f32_e32 v0, v0, v7
	;; [unrolled: 1-line block ×6, first 2 shown]
	v_fma_f32 v16, -0.5, v16, v2
	v_fma_f32 v17, -0.5, v17, v3
	v_sub_f32_e32 v18, v5, v7
	v_sub_f32_e32 v19, v11, v9
	v_add_f32_e32 v21, v18, v19
	v_sub_f32_e32 v22, v5, v11
	v_mov_b32_e32 v18, v16
	v_mov_b32_e32 v19, v17
	v_sub_f32_e32 v24, v4, v10
	v_mul_u32_u24_e32 v20, 0xaf, v20
	v_fmac_f32_e32 v18, 0xbf737871, v22
	v_sub_f32_e32 v23, v7, v9
	v_fmac_f32_e32 v19, 0x3f737871, v24
	v_sub_f32_e32 v25, v6, v8
	v_lshlrev_b32_e32 v20, 3, v20
	v_fmac_f32_e32 v18, 0xbf167918, v23
	v_fmac_f32_e32 v19, 0x3f167918, v25
	v_add_u32_e32 v26, 0, v20
	v_add_f32_e32 v1, v11, v1
	v_fmac_f32_e32 v18, 0x3e9e377a, v13
	v_fmac_f32_e32 v19, 0x3e9e377a, v21
	v_mad_u32_u24 v27, v12, 40, v26
	ds_write2_b64 v27, v[0:1], v[18:19] offset1:1
	v_sub_f32_e32 v0, v6, v4
	v_add_f32_e32 v4, v4, v10
	v_sub_f32_e32 v6, v8, v10
	v_fmac_f32_e32 v2, -0.5, v4
	v_add_f32_e32 v4, v0, v6
	v_mov_b32_e32 v0, v2
	v_sub_f32_e32 v1, v7, v5
	v_add_f32_e32 v5, v5, v11
	v_fmac_f32_e32 v0, 0x3f737871, v23
	v_fmac_f32_e32 v2, 0xbf737871, v23
	v_sub_f32_e32 v7, v9, v11
	v_fmac_f32_e32 v0, 0xbf167918, v22
	v_fmac_f32_e32 v2, 0x3f167918, v22
	v_fmac_f32_e32 v3, -0.5, v5
	v_fmac_f32_e32 v0, 0x3e9e377a, v4
	v_fmac_f32_e32 v2, 0x3e9e377a, v4
	v_add_f32_e32 v4, v1, v7
	v_mov_b32_e32 v1, v3
	v_fmac_f32_e32 v1, 0xbf737871, v25
	v_fmac_f32_e32 v3, 0x3f737871, v25
	;; [unrolled: 1-line block ×10, first 2 shown]
	s_movk_i32 s0, 0xcd
	v_fmac_f32_e32 v16, 0x3e9e377a, v13
	v_fmac_f32_e32 v17, 0x3e9e377a, v21
	ds_write2_b64 v27, v[0:1], v[2:3] offset0:2 offset1:3
	ds_write_b64 v27, v[16:17] offset:32
	v_mul_lo_u16_sdwa v0, v12, s0 dst_sel:DWORD dst_unused:UNUSED_PAD src0_sel:BYTE_0 src1_sel:DWORD
	v_lshrrev_b16_e32 v10, 10, v0
	v_mul_lo_u16_e32 v0, 5, v10
	v_sub_u16_e32 v9, v12, v0
	v_mov_b32_e32 v0, 5
	v_lshlrev_b32_sdwa v8, v0, v9 dst_sel:DWORD dst_unused:UNUSED_PAD src0_sel:DWORD src1_sel:BYTE_0
	s_waitcnt lgkmcnt(0)
	s_barrier
	global_load_dwordx4 v[0:3], v8, s[8:9]
	global_load_dwordx4 v[4:7], v8, s[8:9] offset:16
	v_lshlrev_b32_e32 v8, 5, v12
	v_sub_u32_e32 v8, v27, v8
	ds_read2_b64 v[16:19], v8 offset0:35 offset1:70
	s_movk_i32 s0, 0xc8
	s_waitcnt vmcnt(1) lgkmcnt(0)
	v_mul_f32_e32 v11, v1, v17
	v_mul_f32_e32 v1, v1, v16
	;; [unrolled: 1-line block ×4, first 2 shown]
	v_fmac_f32_e32 v11, v0, v16
	v_fma_f32 v21, v0, v17, -v1
	v_fmac_f32_e32 v13, v2, v18
	v_fma_f32 v18, v2, v19, -v3
	ds_read2_b64 v[0:3], v8 offset0:105 offset1:140
	s_waitcnt vmcnt(0) lgkmcnt(0)
	v_mul_f32_e32 v19, v5, v1
	v_fmac_f32_e32 v19, v4, v0
	v_mul_f32_e32 v0, v5, v0
	v_fma_f32 v22, v4, v1, -v0
	v_mul_f32_e32 v0, v7, v2
	v_mul_f32_e32 v1, v7, v3
	v_fma_f32 v3, v6, v3, -v0
	v_mov_b32_e32 v0, 3
	v_lshlrev_b32_sdwa v0, v0, v9 dst_sel:DWORD dst_unused:UNUSED_PAD src0_sel:DWORD src1_sel:BYTE_0
	v_lshl_add_u32 v9, v12, 3, v26
	ds_read2_b32 v[4:5], v9 offset1:1
	v_fmac_f32_e32 v1, v6, v2
	v_mad_u32_u24 v2, v10, s0, 0
	v_add3_u32 v10, v2, v0, v20
	v_add_f32_e32 v0, v13, v19
	s_waitcnt lgkmcnt(0)
	v_fma_f32 v6, -0.5, v0, v4
	v_sub_f32_e32 v0, v11, v13
	v_sub_f32_e32 v2, v1, v19
	v_add_f32_e32 v2, v0, v2
	v_sub_f32_e32 v7, v21, v3
	v_mov_b32_e32 v0, v6
	v_fmac_f32_e32 v0, 0xbf737871, v7
	v_sub_f32_e32 v16, v18, v22
	v_fmac_f32_e32 v6, 0x3f737871, v7
	v_fmac_f32_e32 v0, 0xbf167918, v16
	v_fmac_f32_e32 v6, 0x3f167918, v16
	v_fmac_f32_e32 v0, 0x3e9e377a, v2
	v_fmac_f32_e32 v6, 0x3e9e377a, v2
	v_add_f32_e32 v2, v11, v1
	v_add_f32_e32 v17, v11, v4
	v_fma_f32 v4, -0.5, v2, v4
	v_sub_f32_e32 v2, v13, v11
	v_sub_f32_e32 v20, v19, v1
	v_add_f32_e32 v20, v2, v20
	v_mov_b32_e32 v2, v4
	v_fmac_f32_e32 v2, 0x3f737871, v16
	v_fmac_f32_e32 v4, 0xbf737871, v16
	;; [unrolled: 1-line block ×4, first 2 shown]
	v_add_f32_e32 v7, v17, v13
	v_add_f32_e32 v16, v5, v21
	;; [unrolled: 1-line block ×7, first 2 shown]
	v_fma_f32 v7, -0.5, v7, v5
	v_sub_f32_e32 v11, v11, v1
	v_sub_f32_e32 v13, v13, v19
	;; [unrolled: 1-line block ×4, first 2 shown]
	v_add_f32_e32 v19, v1, v19
	v_mov_b32_e32 v1, v7
	v_fmac_f32_e32 v1, 0x3f737871, v11
	v_fmac_f32_e32 v7, 0xbf737871, v11
	;; [unrolled: 1-line block ×6, first 2 shown]
	v_add_f32_e32 v19, v21, v3
	v_add_f32_e32 v17, v17, v3
	v_fmac_f32_e32 v5, -0.5, v19
	v_sub_f32_e32 v18, v18, v21
	v_sub_f32_e32 v3, v22, v3
	v_add_f32_e32 v18, v18, v3
	v_mov_b32_e32 v3, v5
	v_fmac_f32_e32 v3, 0xbf737871, v13
	v_fmac_f32_e32 v5, 0x3f737871, v13
	;; [unrolled: 1-line block ×8, first 2 shown]
	v_cmp_gt_u32_e64 s[0:1], 25, v12
	s_barrier
	ds_write2_b64 v10, v[16:17], v[0:1] offset1:5
	ds_write2_b64 v10, v[2:3], v[4:5] offset0:10 offset1:15
	ds_write_b64 v10, v[6:7] offset:160
	s_waitcnt lgkmcnt(0)
	s_barrier
	s_waitcnt lgkmcnt(0)
                                        ; implicit-def: $vgpr11
	s_and_saveexec_b64 s[4:5], s[0:1]
	s_cbranch_execnz .LBB0_13
; %bb.11:
	s_or_b64 exec, exec, s[4:5]
	s_and_b64 s[0:1], vcc, s[0:1]
	s_and_saveexec_b64 s[4:5], s[0:1]
	s_cbranch_execnz .LBB0_14
.LBB0_12:
	s_endpgm
.LBB0_13:
	ds_read_b64 v[16:17], v9
	ds_read2_b64 v[0:3], v8 offset0:25 offset1:50
	ds_read2_b64 v[4:7], v8 offset0:75 offset1:100
	;; [unrolled: 1-line block ×3, first 2 shown]
	s_or_b64 exec, exec, s[4:5]
	s_and_b64 s[0:1], vcc, s[0:1]
	s_and_saveexec_b64 s[4:5], s[0:1]
	s_cbranch_execz .LBB0_12
.LBB0_14:
	v_mul_u32_u24_e32 v13, 6, v12
	v_lshlrev_b32_e32 v13, 3, v13
	global_load_dwordx4 v[18:21], v13, s[8:9] offset:176
	global_load_dwordx4 v[22:25], v13, s[8:9] offset:160
	s_mov_b32 s0, 0x3eae86e6
	s_mov_b32 s1, 0xbf3bfb3b
	;; [unrolled: 1-line block ×3, first 2 shown]
	v_add_co_u32_e32 v14, vcc, s2, v14
	s_waitcnt vmcnt(1) lgkmcnt(1)
	v_mul_f32_e32 v27, v5, v19
	v_fmac_f32_e32 v27, v4, v18
	v_mul_f32_e32 v4, v4, v19
	v_mul_f32_e32 v26, v7, v21
	v_fma_f32 v18, v5, v18, -v4
	v_mul_f32_e32 v4, v6, v21
	v_fmac_f32_e32 v26, v6, v20
	v_fma_f32 v19, v7, v20, -v4
	global_load_dwordx4 v[4:7], v13, s[8:9] offset:192
	s_waitcnt vmcnt(0) lgkmcnt(0)
	v_mul_f32_e32 v20, v9, v5
	v_mul_f32_e32 v5, v8, v5
	v_fmac_f32_e32 v20, v8, v4
	v_fma_f32 v4, v9, v4, -v5
	v_mul_f32_e32 v5, v1, v23
	v_mul_f32_e32 v13, v11, v7
	;; [unrolled: 1-line block ×3, first 2 shown]
	v_fmac_f32_e32 v5, v0, v22
	v_mul_f32_e32 v0, v0, v23
	v_fmac_f32_e32 v13, v10, v6
	v_fma_f32 v6, v11, v6, -v7
	v_mul_f32_e32 v7, v3, v25
	v_fma_f32 v0, v1, v22, -v0
	v_mul_f32_e32 v1, v2, v25
	v_fmac_f32_e32 v7, v2, v24
	v_fma_f32 v1, v3, v24, -v1
	v_sub_f32_e32 v2, v5, v13
	v_sub_f32_e32 v3, v26, v27
	;; [unrolled: 1-line block ×3, first 2 shown]
	v_add_f32_e32 v9, v0, v6
	v_add_f32_e32 v10, v19, v18
	;; [unrolled: 1-line block ×6, first 2 shown]
	v_sub_f32_e32 v0, v0, v6
	v_sub_f32_e32 v6, v19, v18
	;; [unrolled: 1-line block ×5, first 2 shown]
	v_add_f32_e32 v3, v3, v8
	v_sub_f32_e32 v19, v9, v10
	v_sub_f32_e32 v20, v10, v11
	v_add_f32_e32 v21, v9, v11
	v_sub_f32_e32 v9, v11, v9
	v_add_f32_e32 v11, v5, v7
	v_sub_f32_e32 v22, v5, v13
	v_sub_f32_e32 v23, v7, v5
	;; [unrolled: 1-line block ×4, first 2 shown]
	v_add_f32_e32 v2, v2, v3
	v_sub_f32_e32 v3, v0, v6
	v_add_f32_e32 v8, v10, v21
	v_sub_f32_e32 v10, v6, v1
	v_add_f32_e32 v6, v6, v1
	v_mul_f32_e32 v18, 0x3f08b237, v18
	v_add_f32_e32 v11, v13, v11
	v_sub_f32_e32 v21, v1, v0
	v_add_f32_e32 v6, v0, v6
	v_add_f32_e32 v0, v16, v11
	v_mul_f32_e32 v13, 0xbf5ff5aa, v7
	v_mov_b32_e32 v16, v18
	v_add_f32_e32 v1, v17, v8
	v_fma_f32 v13, v4, s0, -v13
	v_fmac_f32_e32 v16, 0xbeae86e6, v4
	v_mul_f32_e32 v4, 0x3f4a47b2, v19
	v_mul_f32_e32 v17, 0x3d64c772, v20
	;; [unrolled: 1-line block ×3, first 2 shown]
	v_fma_f32 v4, v9, s1, -v4
	v_fma_f32 v9, v9, s4, -v17
	v_fmac_f32_e32 v17, 0x3f4a47b2, v19
	v_mul_f32_e32 v19, 0xbf5ff5aa, v21
	v_mov_b32_e32 v20, v10
	v_fma_f32 v19, v3, s0, -v19
	v_fmac_f32_e32 v20, 0xbeae86e6, v3
	v_mov_b32_e32 v3, v1
	v_fmac_f32_e32 v3, 0xbf955555, v8
	v_mov_b32_e32 v8, v0
	s_mov_b32 s0, 0xbf5ff5aa
	v_fmac_f32_e32 v8, 0xbf955555, v11
	v_add_f32_e32 v11, v4, v3
	v_fma_f32 v18, v7, s0, -v18
	v_fmac_f32_e32 v13, 0xbee1c552, v2
	v_add_f32_e32 v9, v9, v3
	v_mul_f32_e32 v7, 0x3d64c772, v5
	v_fmac_f32_e32 v18, 0xbee1c552, v2
	v_fma_f32 v10, v21, s0, -v10
	v_add_f32_e32 v5, v13, v11
	v_sub_f32_e32 v11, v11, v13
	v_mov_b32_e32 v13, 0
	v_fmac_f32_e32 v16, 0xbee1c552, v2
	v_mov_b32_e32 v2, v7
	v_fmac_f32_e32 v20, 0xbee1c552, v6
	v_fmac_f32_e32 v19, 0xbee1c552, v6
	;; [unrolled: 1-line block ×3, first 2 shown]
	v_fma_f32 v6, v23, s4, -v7
	v_sub_f32_e32 v7, v9, v18
	v_add_f32_e32 v9, v18, v9
	v_mov_b32_e32 v18, s3
	v_lshlrev_b64 v[12:13], 3, v[12:13]
	v_mul_f32_e32 v4, 0x3f4a47b2, v22
	v_addc_co_u32_e32 v15, vcc, v18, v15, vcc
	v_fmac_f32_e32 v2, 0x3f4a47b2, v22
	v_fma_f32 v4, v23, s1, -v4
	v_add_co_u32_e32 v12, vcc, v14, v12
	v_add_f32_e32 v17, v17, v3
	v_add_f32_e32 v22, v2, v8
	;; [unrolled: 1-line block ×4, first 2 shown]
	v_addc_co_u32_e32 v13, vcc, v15, v13, vcc
	v_add_f32_e32 v3, v16, v17
	v_sub_f32_e32 v2, v22, v20
	v_sub_f32_e32 v4, v21, v19
	v_add_f32_e32 v6, v10, v8
	v_sub_f32_e32 v8, v8, v10
	v_add_f32_e32 v10, v19, v21
	;; [unrolled: 2-line block ×3, first 2 shown]
	global_store_dwordx2 v[12:13], v[0:1], off
	global_store_dwordx2 v[12:13], v[16:17], off offset:200
	global_store_dwordx2 v[12:13], v[10:11], off offset:400
	;; [unrolled: 1-line block ×6, first 2 shown]
	s_endpgm
	.section	.rodata,"a",@progbits
	.p2align	6, 0x0
	.amdhsa_kernel fft_rtc_back_len175_factors_5_5_7_wgs_245_tpt_35_sp_ip_CI_unitstride_sbrr_dirReg
		.amdhsa_group_segment_fixed_size 0
		.amdhsa_private_segment_fixed_size 0
		.amdhsa_kernarg_size 88
		.amdhsa_user_sgpr_count 6
		.amdhsa_user_sgpr_private_segment_buffer 1
		.amdhsa_user_sgpr_dispatch_ptr 0
		.amdhsa_user_sgpr_queue_ptr 0
		.amdhsa_user_sgpr_kernarg_segment_ptr 1
		.amdhsa_user_sgpr_dispatch_id 0
		.amdhsa_user_sgpr_flat_scratch_init 0
		.amdhsa_user_sgpr_private_segment_size 0
		.amdhsa_uses_dynamic_stack 0
		.amdhsa_system_sgpr_private_segment_wavefront_offset 0
		.amdhsa_system_sgpr_workgroup_id_x 1
		.amdhsa_system_sgpr_workgroup_id_y 0
		.amdhsa_system_sgpr_workgroup_id_z 0
		.amdhsa_system_sgpr_workgroup_info 0
		.amdhsa_system_vgpr_workitem_id 0
		.amdhsa_next_free_vgpr 28
		.amdhsa_next_free_sgpr 22
		.amdhsa_reserve_vcc 1
		.amdhsa_reserve_flat_scratch 0
		.amdhsa_float_round_mode_32 0
		.amdhsa_float_round_mode_16_64 0
		.amdhsa_float_denorm_mode_32 3
		.amdhsa_float_denorm_mode_16_64 3
		.amdhsa_dx10_clamp 1
		.amdhsa_ieee_mode 1
		.amdhsa_fp16_overflow 0
		.amdhsa_exception_fp_ieee_invalid_op 0
		.amdhsa_exception_fp_denorm_src 0
		.amdhsa_exception_fp_ieee_div_zero 0
		.amdhsa_exception_fp_ieee_overflow 0
		.amdhsa_exception_fp_ieee_underflow 0
		.amdhsa_exception_fp_ieee_inexact 0
		.amdhsa_exception_int_div_zero 0
	.end_amdhsa_kernel
	.text
.Lfunc_end0:
	.size	fft_rtc_back_len175_factors_5_5_7_wgs_245_tpt_35_sp_ip_CI_unitstride_sbrr_dirReg, .Lfunc_end0-fft_rtc_back_len175_factors_5_5_7_wgs_245_tpt_35_sp_ip_CI_unitstride_sbrr_dirReg
                                        ; -- End function
	.section	.AMDGPU.csdata,"",@progbits
; Kernel info:
; codeLenInByte = 3100
; NumSgprs: 26
; NumVgprs: 28
; ScratchSize: 0
; MemoryBound: 0
; FloatMode: 240
; IeeeMode: 1
; LDSByteSize: 0 bytes/workgroup (compile time only)
; SGPRBlocks: 3
; VGPRBlocks: 6
; NumSGPRsForWavesPerEU: 26
; NumVGPRsForWavesPerEU: 28
; Occupancy: 9
; WaveLimiterHint : 1
; COMPUTE_PGM_RSRC2:SCRATCH_EN: 0
; COMPUTE_PGM_RSRC2:USER_SGPR: 6
; COMPUTE_PGM_RSRC2:TRAP_HANDLER: 0
; COMPUTE_PGM_RSRC2:TGID_X_EN: 1
; COMPUTE_PGM_RSRC2:TGID_Y_EN: 0
; COMPUTE_PGM_RSRC2:TGID_Z_EN: 0
; COMPUTE_PGM_RSRC2:TIDIG_COMP_CNT: 0
	.type	__hip_cuid_995841cfbdcbb8e1,@object ; @__hip_cuid_995841cfbdcbb8e1
	.section	.bss,"aw",@nobits
	.globl	__hip_cuid_995841cfbdcbb8e1
__hip_cuid_995841cfbdcbb8e1:
	.byte	0                               ; 0x0
	.size	__hip_cuid_995841cfbdcbb8e1, 1

	.ident	"AMD clang version 19.0.0git (https://github.com/RadeonOpenCompute/llvm-project roc-6.4.0 25133 c7fe45cf4b819c5991fe208aaa96edf142730f1d)"
	.section	".note.GNU-stack","",@progbits
	.addrsig
	.addrsig_sym __hip_cuid_995841cfbdcbb8e1
	.amdgpu_metadata
---
amdhsa.kernels:
  - .args:
      - .actual_access:  read_only
        .address_space:  global
        .offset:         0
        .size:           8
        .value_kind:     global_buffer
      - .offset:         8
        .size:           8
        .value_kind:     by_value
      - .actual_access:  read_only
        .address_space:  global
        .offset:         16
        .size:           8
        .value_kind:     global_buffer
      - .actual_access:  read_only
        .address_space:  global
        .offset:         24
        .size:           8
        .value_kind:     global_buffer
      - .offset:         32
        .size:           8
        .value_kind:     by_value
      - .actual_access:  read_only
        .address_space:  global
        .offset:         40
        .size:           8
        .value_kind:     global_buffer
      - .actual_access:  read_only
        .address_space:  global
        .offset:         48
        .size:           8
        .value_kind:     global_buffer
      - .offset:         56
        .size:           4
        .value_kind:     by_value
      - .actual_access:  read_only
        .address_space:  global
        .offset:         64
        .size:           8
        .value_kind:     global_buffer
      - .actual_access:  read_only
        .address_space:  global
        .offset:         72
        .size:           8
        .value_kind:     global_buffer
      - .address_space:  global
        .offset:         80
        .size:           8
        .value_kind:     global_buffer
    .group_segment_fixed_size: 0
    .kernarg_segment_align: 8
    .kernarg_segment_size: 88
    .language:       OpenCL C
    .language_version:
      - 2
      - 0
    .max_flat_workgroup_size: 245
    .name:           fft_rtc_back_len175_factors_5_5_7_wgs_245_tpt_35_sp_ip_CI_unitstride_sbrr_dirReg
    .private_segment_fixed_size: 0
    .sgpr_count:     26
    .sgpr_spill_count: 0
    .symbol:         fft_rtc_back_len175_factors_5_5_7_wgs_245_tpt_35_sp_ip_CI_unitstride_sbrr_dirReg.kd
    .uniform_work_group_size: 1
    .uses_dynamic_stack: false
    .vgpr_count:     28
    .vgpr_spill_count: 0
    .wavefront_size: 64
amdhsa.target:   amdgcn-amd-amdhsa--gfx906
amdhsa.version:
  - 1
  - 2
...

	.end_amdgpu_metadata
